;; amdgpu-corpus repo=ROCm/rocm-examples kind=compiled arch=gfx90a opt=O3
	.text
	.amdgcn_target "amdgcn-amd-amdhsa--gfx90a"
	.amdhsa_code_object_version 6
	.protected	_Z9transposePKiPiii     ; -- Begin function _Z9transposePKiPiii
	.globl	_Z9transposePKiPiii
	.p2align	8
	.type	_Z9transposePKiPiii,@function
_Z9transposePKiPiii:                    ; @_Z9transposePKiPiii
; %bb.0:
	s_load_dword s10, s[4:5], 0x24
	s_load_dwordx4 s[0:3], s[4:5], 0x0
	s_load_dwordx2 s[8:9], s[4:5], 0x10
	v_bfe_u32 v2, v0, 10, 10
	v_and_b32_e32 v3, 0x3ff, v0
	s_waitcnt lgkmcnt(0)
	s_lshr_b32 s4, s10, 16
	s_mul_i32 s7, s7, s4
	s_and_b32 s5, s10, 0xffff
	v_add_u32_e32 v1, s7, v2
	s_mul_i32 s6, s6, s5
	v_mul_lo_u32 v1, v1, s8
	v_add3_u32 v0, s6, v3, v1
	v_ashrrev_i32_e32 v1, 31, v0
	v_lshlrev_b64 v[0:1], 2, v[0:1]
	v_mov_b32_e32 v4, s1
	v_add_co_u32_e32 v0, vcc, s0, v0
	v_addc_co_u32_e32 v1, vcc, v4, v1, vcc
	global_load_dword v4, v[0:1], off
	v_lshlrev_b32_e32 v0, 2, v3
	v_lshlrev_b32_e32 v1, 2, v2
	v_lshl_add_u32 v5, v2, 7, v0
	v_add_u32_e32 v0, s6, v2
	v_lshl_add_u32 v6, v3, 7, v1
	v_mul_lo_u32 v0, v0, s9
	v_add3_u32 v0, s7, v3, v0
	v_ashrrev_i32_e32 v1, 31, v0
	v_lshlrev_b64 v[0:1], 2, v[0:1]
	v_mov_b32_e32 v3, s3
	v_add_co_u32_e32 v0, vcc, s2, v0
	v_addc_co_u32_e32 v1, vcc, v3, v1, vcc
	s_waitcnt vmcnt(0)
	ds_write_b32 v5, v4
	s_waitcnt lgkmcnt(0)
	s_barrier
	ds_read_b32 v2, v6
	s_waitcnt lgkmcnt(0)
	global_store_dword v[0:1], v2, off
	s_endpgm
	.section	.rodata,"a",@progbits
	.p2align	6, 0x0
	.amdhsa_kernel _Z9transposePKiPiii
		.amdhsa_group_segment_fixed_size 4096
		.amdhsa_private_segment_fixed_size 0
		.amdhsa_kernarg_size 280
		.amdhsa_user_sgpr_count 6
		.amdhsa_user_sgpr_private_segment_buffer 1
		.amdhsa_user_sgpr_dispatch_ptr 0
		.amdhsa_user_sgpr_queue_ptr 0
		.amdhsa_user_sgpr_kernarg_segment_ptr 1
		.amdhsa_user_sgpr_dispatch_id 0
		.amdhsa_user_sgpr_flat_scratch_init 0
		.amdhsa_user_sgpr_kernarg_preload_length 0
		.amdhsa_user_sgpr_kernarg_preload_offset 0
		.amdhsa_user_sgpr_private_segment_size 0
		.amdhsa_uses_dynamic_stack 0
		.amdhsa_system_sgpr_private_segment_wavefront_offset 0
		.amdhsa_system_sgpr_workgroup_id_x 1
		.amdhsa_system_sgpr_workgroup_id_y 1
		.amdhsa_system_sgpr_workgroup_id_z 0
		.amdhsa_system_sgpr_workgroup_info 0
		.amdhsa_system_vgpr_workitem_id 1
		.amdhsa_next_free_vgpr 7
		.amdhsa_next_free_sgpr 11
		.amdhsa_accum_offset 8
		.amdhsa_reserve_vcc 1
		.amdhsa_reserve_flat_scratch 0
		.amdhsa_float_round_mode_32 0
		.amdhsa_float_round_mode_16_64 0
		.amdhsa_float_denorm_mode_32 3
		.amdhsa_float_denorm_mode_16_64 3
		.amdhsa_dx10_clamp 1
		.amdhsa_ieee_mode 1
		.amdhsa_fp16_overflow 0
		.amdhsa_tg_split 0
		.amdhsa_exception_fp_ieee_invalid_op 0
		.amdhsa_exception_fp_denorm_src 0
		.amdhsa_exception_fp_ieee_div_zero 0
		.amdhsa_exception_fp_ieee_overflow 0
		.amdhsa_exception_fp_ieee_underflow 0
		.amdhsa_exception_fp_ieee_inexact 0
		.amdhsa_exception_int_div_zero 0
	.end_amdhsa_kernel
	.text
.Lfunc_end0:
	.size	_Z9transposePKiPiii, .Lfunc_end0-_Z9transposePKiPiii
                                        ; -- End function
	.section	.AMDGPU.csdata,"",@progbits
; Kernel info:
; codeLenInByte = 228
; NumSgprs: 15
; NumVgprs: 7
; NumAgprs: 0
; TotalNumVgprs: 7
; ScratchSize: 0
; MemoryBound: 0
; FloatMode: 240
; IeeeMode: 1
; LDSByteSize: 4096 bytes/workgroup (compile time only)
; SGPRBlocks: 1
; VGPRBlocks: 0
; NumSGPRsForWavesPerEU: 15
; NumVGPRsForWavesPerEU: 7
; AccumOffset: 8
; Occupancy: 8
; WaveLimiterHint : 0
; COMPUTE_PGM_RSRC2:SCRATCH_EN: 0
; COMPUTE_PGM_RSRC2:USER_SGPR: 6
; COMPUTE_PGM_RSRC2:TRAP_HANDLER: 0
; COMPUTE_PGM_RSRC2:TGID_X_EN: 1
; COMPUTE_PGM_RSRC2:TGID_Y_EN: 1
; COMPUTE_PGM_RSRC2:TGID_Z_EN: 0
; COMPUTE_PGM_RSRC2:TIDIG_COMP_CNT: 1
; COMPUTE_PGM_RSRC3_GFX90A:ACCUM_OFFSET: 1
; COMPUTE_PGM_RSRC3_GFX90A:TG_SPLIT: 0
	.text
	.protected	_Z15test_kern_largePm   ; -- Begin function _Z15test_kern_largePm
	.globl	_Z15test_kern_largePm
	.p2align	8
	.type	_Z15test_kern_largePm,@function
_Z15test_kern_largePm:                  ; @_Z15test_kern_largePm
; %bb.0:
	s_add_u32 s0, s0, s9
	s_movk_i32 s6, 0xf060
	s_addc_u32 s1, s1, 0
	v_mov_b32_e32 v0, 16
	s_mov_b32 s7, -1
	v_mov_b32_e32 v1, 0x5050505
.LBB1_1:                                ; =>This Inner Loop Header: Depth=1
	s_add_u32 s6, s6, 0x50
	s_addc_u32 s7, s7, 0
	buffer_store_dword v1, v0, s[0:3], 0 offen
	buffer_store_dword v1, v0, s[0:3], 0 offen offset:4
	buffer_store_dword v1, v0, s[0:3], 0 offen offset:8
	;; [unrolled: 1-line block ×19, first 2 shown]
	s_cmp_lg_u64 s[6:7], 0
	v_add_u32_e32 v0, 0x50, v0
	s_cbranch_scc1 .LBB1_1
; %bb.2:
	s_load_dwordx2 s[4:5], s[4:5], 0x0
	s_mov_b32 s6, 0
	v_mov_b32_e32 v2, 16
	s_waitcnt lgkmcnt(0)
	s_load_dwordx2 s[8:9], s[4:5], 0x0
	s_waitcnt lgkmcnt(0)
	v_pk_mov_b32 v[0:1], s[8:9], s[8:9] op_sel:[0,1]
.LBB1_3:                                ; =>This Inner Loop Header: Depth=1
	v_add_u32_e32 v3, s6, v2
	buffer_load_dword v4, v3, s[0:3], 0 offen
	buffer_load_dword v5, v3, s[0:3], 0 offen offset:4
	buffer_load_dword v6, v3, s[0:3], 0 offen offset:8
	;; [unrolled: 1-line block ×15, first 2 shown]
	s_add_i32 s6, s6, 64
	s_cmpk_eq_i32 s6, 0x3e80
	s_waitcnt vmcnt(15)
	v_add_u32_e32 v4, 7, v4
	v_ashrrev_i32_e32 v20, 31, v4
	v_add_co_u32_e32 v0, vcc, v0, v4
	s_waitcnt vmcnt(14)
	v_add_u32_e32 v5, 7, v5
	v_addc_co_u32_e32 v1, vcc, v1, v20, vcc
	v_ashrrev_i32_e32 v21, 31, v5
	v_add_co_u32_e32 v0, vcc, v0, v5
	s_waitcnt vmcnt(13)
	v_add_u32_e32 v6, 7, v6
	v_addc_co_u32_e32 v1, vcc, v1, v21, vcc
	;; [unrolled: 5-line block ×15, first 2 shown]
	buffer_store_dword v4, v3, s[0:3], 0 offen
	buffer_store_dword v5, v3, s[0:3], 0 offen offset:4
	buffer_store_dword v6, v3, s[0:3], 0 offen offset:8
	;; [unrolled: 1-line block ×15, first 2 shown]
	v_ashrrev_i32_e32 v3, 31, v19
	v_add_co_u32_e32 v0, vcc, v0, v19
	v_addc_co_u32_e32 v1, vcc, v1, v3, vcc
	s_cbranch_scc0 .LBB1_3
; %bb.4:
	v_mov_b32_e32 v2, 0
	global_store_dwordx2 v2, v[0:1], s[4:5]
	s_endpgm
	.section	.rodata,"a",@progbits
	.p2align	6, 0x0
	.amdhsa_kernel _Z15test_kern_largePm
		.amdhsa_group_segment_fixed_size 0
		.amdhsa_private_segment_fixed_size 16016
		.amdhsa_kernarg_size 8
		.amdhsa_user_sgpr_count 8
		.amdhsa_user_sgpr_private_segment_buffer 1
		.amdhsa_user_sgpr_dispatch_ptr 0
		.amdhsa_user_sgpr_queue_ptr 0
		.amdhsa_user_sgpr_kernarg_segment_ptr 1
		.amdhsa_user_sgpr_dispatch_id 0
		.amdhsa_user_sgpr_flat_scratch_init 1
		.amdhsa_user_sgpr_kernarg_preload_length 0
		.amdhsa_user_sgpr_kernarg_preload_offset 0
		.amdhsa_user_sgpr_private_segment_size 0
		.amdhsa_uses_dynamic_stack 0
		.amdhsa_system_sgpr_private_segment_wavefront_offset 1
		.amdhsa_system_sgpr_workgroup_id_x 1
		.amdhsa_system_sgpr_workgroup_id_y 0
		.amdhsa_system_sgpr_workgroup_id_z 0
		.amdhsa_system_sgpr_workgroup_info 0
		.amdhsa_system_vgpr_workitem_id 0
		.amdhsa_next_free_vgpr 35
		.amdhsa_next_free_sgpr 10
		.amdhsa_accum_offset 36
		.amdhsa_reserve_vcc 1
		.amdhsa_reserve_flat_scratch 0
		.amdhsa_float_round_mode_32 0
		.amdhsa_float_round_mode_16_64 0
		.amdhsa_float_denorm_mode_32 3
		.amdhsa_float_denorm_mode_16_64 3
		.amdhsa_dx10_clamp 1
		.amdhsa_ieee_mode 1
		.amdhsa_fp16_overflow 0
		.amdhsa_tg_split 0
		.amdhsa_exception_fp_ieee_invalid_op 0
		.amdhsa_exception_fp_denorm_src 0
		.amdhsa_exception_fp_ieee_div_zero 0
		.amdhsa_exception_fp_ieee_overflow 0
		.amdhsa_exception_fp_ieee_underflow 0
		.amdhsa_exception_fp_ieee_inexact 0
		.amdhsa_exception_int_div_zero 0
	.end_amdhsa_kernel
	.text
.Lfunc_end1:
	.size	_Z15test_kern_largePm, .Lfunc_end1-_Z15test_kern_largePm
                                        ; -- End function
	.section	.AMDGPU.csdata,"",@progbits
; Kernel info:
; codeLenInByte = 864
; NumSgprs: 14
; NumVgprs: 35
; NumAgprs: 0
; TotalNumVgprs: 35
; ScratchSize: 16016
; MemoryBound: 0
; FloatMode: 240
; IeeeMode: 1
; LDSByteSize: 0 bytes/workgroup (compile time only)
; SGPRBlocks: 1
; VGPRBlocks: 4
; NumSGPRsForWavesPerEU: 14
; NumVGPRsForWavesPerEU: 35
; AccumOffset: 36
; Occupancy: 8
; WaveLimiterHint : 0
; COMPUTE_PGM_RSRC2:SCRATCH_EN: 1
; COMPUTE_PGM_RSRC2:USER_SGPR: 8
; COMPUTE_PGM_RSRC2:TRAP_HANDLER: 0
; COMPUTE_PGM_RSRC2:TGID_X_EN: 1
; COMPUTE_PGM_RSRC2:TGID_Y_EN: 0
; COMPUTE_PGM_RSRC2:TGID_Z_EN: 0
; COMPUTE_PGM_RSRC2:TIDIG_COMP_CNT: 0
; COMPUTE_PGM_RSRC3_GFX90A:ACCUM_OFFSET: 8
; COMPUTE_PGM_RSRC3_GFX90A:TG_SPLIT: 0
	.text
	.protected	_Z16test_kern_mediumPm  ; -- Begin function _Z16test_kern_mediumPm
	.globl	_Z16test_kern_mediumPm
	.p2align	8
	.type	_Z16test_kern_mediumPm,@function
_Z16test_kern_mediumPm:                 ; @_Z16test_kern_mediumPm
; %bb.0:
	s_add_u32 s0, s0, s9
	s_addc_u32 s1, s1, 0
	v_mov_b32_e32 v2, 0
	s_mov_b64 s[6:7], 0xaf
	v_mov_b32_e32 v1, 0x5050505
	s_branch .LBB2_2
.LBB2_1:                                ;   in Loop: Header=BB2_2 Depth=1
	s_add_u32 s6, s6, 0xffffffe0
	s_addc_u32 s7, s7, -1
	v_add_u32_e32 v2, 32, v0
	buffer_store_dword v1, v0, s[0:3], 0 offen offset:12
	buffer_store_dword v1, v0, s[0:3], 0 offen offset:16
	;; [unrolled: 1-line block ×5, first 2 shown]
	s_cbranch_execz .LBB2_4
.LBB2_2:                                ; =>This Inner Loop Header: Depth=1
	s_and_b32 s8, s6, -4
	s_mov_b32 s9, s7
	v_mov_b32_e32 v0, v2
	s_cmp_eq_u64 s[8:9], 12
	buffer_store_dword v1, v2, s[0:3], 0 offen
	buffer_store_dword v1, v2, s[0:3], 0 offen offset:4
	buffer_store_dword v1, v2, s[0:3], 0 offen offset:8
	s_cbranch_scc0 .LBB2_1
; %bb.3:
                                        ; implicit-def: $sgpr6_sgpr7
                                        ; implicit-def: $vgpr2
.LBB2_4:
	buffer_load_dword v1, off, s[0:3], 0 offset:4
	buffer_load_dword v2, off, s[0:3], 0
	buffer_load_dword v3, off, s[0:3], 0 offset:8
	v_mov_b32_e32 v4, 5
	v_mov_b32_e32 v5, 0x505
	buffer_store_byte v4, v0, s[0:3], 0 offen offset:14
	buffer_store_short v5, v0, s[0:3], 0 offen offset:12
	buffer_load_dword v4, off, s[0:3], 0 offset:12
	s_nop 0
	buffer_load_dword v5, off, s[0:3], 0 offset:20
	buffer_load_dword v6, off, s[0:3], 0 offset:16
	;; [unrolled: 1-line block ×12, first 2 shown]
	s_load_dwordx2 s[4:5], s[4:5], 0x0
	v_mov_b32_e32 v0, 0
	s_waitcnt lgkmcnt(0)
	s_load_dwordx2 s[6:7], s[4:5], 0x0
	buffer_load_dword v17, off, s[0:3], 0 offset:64
	buffer_load_dword v18, off, s[0:3], 0 offset:68
	buffer_load_dword v19, off, s[0:3], 0 offset:72
	buffer_load_dword v20, off, s[0:3], 0 offset:76
	s_waitcnt lgkmcnt(0)
	v_mov_b32_e32 v21, s7
	s_waitcnt vmcnt(16)
	v_add_u32_e32 v4, 7, v4
	v_add_u32_e32 v2, 7, v2
	v_add_u32_e32 v1, 7, v1
	v_ashrrev_i32_e32 v22, 31, v2
	buffer_store_dword v2, off, s[0:3], 0
	buffer_store_dword v1, off, s[0:3], 0 offset:4
	v_add_co_u32_e32 v2, vcc, s6, v2
	v_addc_co_u32_e32 v21, vcc, v21, v22, vcc
	v_ashrrev_i32_e32 v23, 31, v1
	v_add_co_u32_e32 v1, vcc, v2, v1
	v_add_u32_e32 v3, 7, v3
	v_addc_co_u32_e32 v2, vcc, v21, v23, vcc
	v_ashrrev_i32_e32 v24, 31, v3
	v_add_co_u32_e32 v1, vcc, v1, v3
	v_addc_co_u32_e32 v2, vcc, v2, v24, vcc
	v_ashrrev_i32_e32 v21, 31, v4
	v_add_co_u32_e32 v1, vcc, v1, v4
	s_waitcnt vmcnt(16)
	v_add_u32_e32 v6, 7, v6
	v_addc_co_u32_e32 v2, vcc, v2, v21, vcc
	v_ashrrev_i32_e32 v22, 31, v6
	v_add_co_u32_e32 v1, vcc, v1, v6
	v_add_u32_e32 v5, 7, v5
	v_addc_co_u32_e32 v2, vcc, v2, v22, vcc
	v_ashrrev_i32_e32 v23, 31, v5
	v_add_co_u32_e32 v1, vcc, v1, v5
	s_waitcnt vmcnt(14)
	v_add_u32_e32 v8, 7, v8
	v_addc_co_u32_e32 v2, vcc, v2, v23, vcc
	v_ashrrev_i32_e32 v25, 31, v8
	v_add_co_u32_e32 v1, vcc, v1, v8
	v_add_u32_e32 v7, 7, v7
	;; [unrolled: 9-line block ×3, first 2 shown]
	v_addc_co_u32_e32 v2, vcc, v2, v27, vcc
	buffer_store_dword v3, off, s[0:3], 0 offset:8
	buffer_store_dword v4, off, s[0:3], 0 offset:12
	;; [unrolled: 1-line block ×8, first 2 shown]
	v_ashrrev_i32_e32 v3, 31, v9
	v_add_co_u32_e32 v1, vcc, v1, v9
	v_addc_co_u32_e32 v2, vcc, v2, v3, vcc
	buffer_load_dword v3, off, s[0:3], 0 offset:80
	buffer_load_dword v4, off, s[0:3], 0 offset:84
	s_waitcnt vmcnt(21)
	v_add_u32_e32 v6, 7, v11
	v_ashrrev_i32_e32 v7, 31, v6
	v_add_co_u32_e32 v1, vcc, v1, v6
	s_waitcnt vmcnt(20)
	v_add_u32_e32 v5, 7, v12
	v_addc_co_u32_e32 v2, vcc, v2, v7, vcc
	buffer_store_dword v6, off, s[0:3], 0 offset:40
	buffer_store_dword v5, off, s[0:3], 0 offset:44
	v_ashrrev_i32_e32 v6, 31, v5
	v_add_co_u32_e32 v1, vcc, v1, v5
	v_addc_co_u32_e32 v2, vcc, v2, v6, vcc
	buffer_load_dword v5, off, s[0:3], 0 offset:88
	buffer_load_dword v6, off, s[0:3], 0 offset:92
	s_waitcnt vmcnt(23)
	v_add_u32_e32 v8, 7, v13
	v_ashrrev_i32_e32 v9, 31, v8
	v_add_co_u32_e32 v1, vcc, v1, v8
	s_waitcnt vmcnt(22)
	v_add_u32_e32 v7, 7, v14
	v_addc_co_u32_e32 v2, vcc, v2, v9, vcc
	buffer_store_dword v8, off, s[0:3], 0 offset:48
	buffer_store_dword v7, off, s[0:3], 0 offset:52
	v_ashrrev_i32_e32 v8, 31, v7
	v_add_co_u32_e32 v1, vcc, v1, v7
	v_addc_co_u32_e32 v2, vcc, v2, v8, vcc
	buffer_load_dword v7, off, s[0:3], 0 offset:96
	buffer_load_dword v8, off, s[0:3], 0 offset:100
	s_waitcnt vmcnt(25)
	v_add_u32_e32 v10, 7, v15
	s_waitcnt vmcnt(24)
	v_add_u32_e32 v9, 7, v16
	v_ashrrev_i32_e32 v11, 31, v10
	v_add_co_u32_e32 v1, vcc, v1, v10
	buffer_store_dword v10, off, s[0:3], 0 offset:56
	buffer_store_dword v9, off, s[0:3], 0 offset:60
	v_addc_co_u32_e32 v2, vcc, v2, v11, vcc
	buffer_load_dword v11, off, s[0:3], 0 offset:104
	v_ashrrev_i32_e32 v10, 31, v9
	v_add_co_u32_e32 v1, vcc, v1, v9
	v_addc_co_u32_e32 v2, vcc, v2, v10, vcc
	s_waitcnt vmcnt(25)
	v_add_u32_e32 v9, 7, v18
	v_add_u32_e32 v10, 7, v17
	v_ashrrev_i32_e32 v12, 31, v10
	v_add_co_u32_e32 v1, vcc, v1, v10
	buffer_store_dword v9, off, s[0:3], 0 offset:68
	buffer_store_dword v10, off, s[0:3], 0 offset:64
	v_addc_co_u32_e32 v2, vcc, v2, v12, vcc
	buffer_load_dword v12, off, s[0:3], 0 offset:108
	buffer_load_dword v14, off, s[0:3], 0 offset:112
	v_ashrrev_i32_e32 v10, 31, v9
	v_add_co_u32_e32 v1, vcc, v1, v9
	s_waitcnt vmcnt(27)
	v_add_u32_e32 v9, 7, v20
	v_addc_co_u32_e32 v2, vcc, v2, v10, vcc
	v_add_u32_e32 v10, 7, v19
	buffer_store_dword v9, off, s[0:3], 0 offset:76
	buffer_store_dword v10, off, s[0:3], 0 offset:72
	v_ashrrev_i32_e32 v13, 31, v10
	v_add_co_u32_e32 v1, vcc, v1, v10
	buffer_load_dword v10, off, s[0:3], 0 offset:116
	v_addc_co_u32_e32 v2, vcc, v2, v13, vcc
	v_ashrrev_i32_e32 v13, 31, v9
	v_add_co_u32_e32 v1, vcc, v1, v9
	buffer_load_dword v9, off, s[0:3], 0 offset:120
	buffer_load_dword v15, off, s[0:3], 0 offset:124
	v_addc_co_u32_e32 v2, vcc, v2, v13, vcc
	s_waitcnt vmcnt(21)
	v_add_u32_e32 v3, 7, v3
	s_waitcnt vmcnt(20)
	v_add_u32_e32 v4, 7, v4
	v_ashrrev_i32_e32 v13, 31, v3
	v_add_co_u32_e32 v1, vcc, v1, v3
	buffer_store_dword v4, off, s[0:3], 0 offset:84
	buffer_store_dword v3, off, s[0:3], 0 offset:80
	v_addc_co_u32_e32 v2, vcc, v2, v13, vcc
	buffer_load_dword v13, off, s[0:3], 0 offset:128
	v_ashrrev_i32_e32 v3, 31, v4
	v_add_co_u32_e32 v1, vcc, v1, v4
	v_addc_co_u32_e32 v2, vcc, v2, v3, vcc
	s_waitcnt vmcnt(20)
	v_add_u32_e32 v4, 7, v5
	s_waitcnt vmcnt(19)
	v_add_u32_e32 v3, 7, v6
	buffer_load_dword v6, off, s[0:3], 0 offset:132
	s_nop 0
	buffer_store_dword v3, off, s[0:3], 0 offset:92
	buffer_store_dword v4, off, s[0:3], 0 offset:88
	v_ashrrev_i32_e32 v5, 31, v4
	v_add_co_u32_e32 v1, vcc, v1, v4
	buffer_load_dword v4, off, s[0:3], 0 offset:136
	v_addc_co_u32_e32 v2, vcc, v2, v5, vcc
	v_ashrrev_i32_e32 v5, 31, v3
	v_add_co_u32_e32 v1, vcc, v1, v3
	v_addc_co_u32_e32 v2, vcc, v2, v5, vcc
	buffer_load_dword v5, off, s[0:3], 0 offset:140
	s_waitcnt vmcnt(21)
	v_add_u32_e32 v7, 7, v7
	s_waitcnt vmcnt(20)
	v_add_u32_e32 v3, 7, v8
	v_ashrrev_i32_e32 v8, 31, v7
	v_add_co_u32_e32 v1, vcc, v1, v7
	v_addc_co_u32_e32 v2, vcc, v2, v8, vcc
	buffer_load_dword v8, off, s[0:3], 0 offset:144
	s_nop 0
	buffer_store_dword v3, off, s[0:3], 0 offset:100
	buffer_store_dword v7, off, s[0:3], 0 offset:96
	buffer_load_dword v16, off, s[0:3], 0 offset:148
	v_ashrrev_i32_e32 v7, 31, v3
	v_add_co_u32_e32 v1, vcc, v1, v3
	s_waitcnt vmcnt(21)
	v_add_u32_e32 v3, 7, v11
	buffer_load_dword v11, off, s[0:3], 0 offset:152
	v_addc_co_u32_e32 v2, vcc, v2, v7, vcc
	v_ashrrev_i32_e32 v7, 31, v3
	v_add_co_u32_e32 v1, vcc, v1, v3
	v_addc_co_u32_e32 v2, vcc, v2, v7, vcc
	s_waitcnt vmcnt(19)
	v_add_u32_e32 v12, 7, v12
	v_ashrrev_i32_e32 v19, 31, v12
	v_add_co_u32_e32 v1, vcc, v1, v12
	buffer_store_dword v3, off, s[0:3], 0 offset:104
	v_addc_co_u32_e32 v2, vcc, v2, v19, vcc
	s_waitcnt vmcnt(19)
	v_add_u32_e32 v12, 7, v14
	buffer_load_dword v3, off, s[0:3], 0 offset:156
	buffer_load_dword v7, off, s[0:3], 0 offset:160
	;; [unrolled: 1-line block ×4, first 2 shown]
	v_ashrrev_i32_e32 v14, 31, v12
	v_add_co_u32_e32 v1, vcc, v1, v12
	v_addc_co_u32_e32 v2, vcc, v2, v14, vcc
	s_waitcnt vmcnt(20)
	v_add_u32_e32 v10, 7, v10
	v_ashrrev_i32_e32 v12, 31, v10
	v_add_co_u32_e32 v1, vcc, v1, v10
	v_addc_co_u32_e32 v2, vcc, v2, v12, vcc
	s_waitcnt vmcnt(19)
	v_add_u32_e32 v9, 7, v9
	;; [unrolled: 5-line block ×3, first 2 shown]
	buffer_load_dword v12, off, s[0:3], 0 offset:172
	v_ashrrev_i32_e32 v10, 31, v9
	v_add_co_u32_e32 v1, vcc, v1, v9
	v_addc_co_u32_e32 v2, vcc, v2, v10, vcc
	buffer_load_dword v14, off, s[0:3], 0 offset:196
	buffer_load_dword v15, off, s[0:3], 0 offset:212
	s_waitcnt vmcnt(18)
	v_add_u32_e32 v9, 7, v13
	buffer_load_dword v13, off, s[0:3], 0 offset:176
	v_ashrrev_i32_e32 v10, 31, v9
	v_add_co_u32_e32 v1, vcc, v1, v9
	v_addc_co_u32_e32 v2, vcc, v2, v10, vcc
	buffer_load_dword v10, off, s[0:3], 0 offset:180
	s_waitcnt vmcnt(19)
	v_add_u32_e32 v6, 7, v6
	v_ashrrev_i32_e32 v9, 31, v6
	v_add_co_u32_e32 v1, vcc, v1, v6
	v_addc_co_u32_e32 v2, vcc, v2, v9, vcc
	buffer_load_dword v9, off, s[0:3], 0 offset:184
	s_waitcnt vmcnt(17)
	v_add_u32_e32 v4, 7, v4
	;; [unrolled: 6-line block ×3, first 2 shown]
	v_ashrrev_i32_e32 v5, 31, v4
	v_add_co_u32_e32 v1, vcc, v1, v4
	v_addc_co_u32_e32 v2, vcc, v2, v5, vcc
	s_waitcnt vmcnt(16)
	v_add_u32_e32 v4, 7, v8
	buffer_load_dword v8, off, s[0:3], 0 offset:192
	v_ashrrev_i32_e32 v5, 31, v4
	v_add_co_u32_e32 v1, vcc, v1, v4
	v_addc_co_u32_e32 v2, vcc, v2, v5, vcc
	s_waitcnt vmcnt(14)
	v_add_u32_e32 v4, 7, v16
	v_ashrrev_i32_e32 v5, 31, v4
	v_add_co_u32_e32 v1, vcc, v1, v4
	s_waitcnt vmcnt(13)
	v_add_u32_e32 v4, 7, v11
	buffer_load_dword v11, off, s[0:3], 0 offset:200
	v_addc_co_u32_e32 v2, vcc, v2, v5, vcc
	v_ashrrev_i32_e32 v5, 31, v4
	v_add_co_u32_e32 v1, vcc, v1, v4
	v_addc_co_u32_e32 v2, vcc, v2, v5, vcc
	buffer_load_dword v5, off, s[0:3], 0 offset:204
	s_waitcnt vmcnt(13)
	v_add_u32_e32 v3, 7, v3
	v_ashrrev_i32_e32 v4, 31, v3
	v_add_co_u32_e32 v1, vcc, v1, v3
	s_waitcnt vmcnt(12)
	v_add_u32_e32 v3, 7, v7
	buffer_load_dword v7, off, s[0:3], 0 offset:208
	v_addc_co_u32_e32 v2, vcc, v2, v4, vcc
	v_ashrrev_i32_e32 v4, 31, v3
	v_add_co_u32_e32 v1, vcc, v1, v3
	v_addc_co_u32_e32 v2, vcc, v2, v4, vcc
	s_waitcnt vmcnt(12)
	v_add_u32_e32 v3, 7, v17
	v_ashrrev_i32_e32 v4, 31, v3
	v_add_co_u32_e32 v1, vcc, v1, v3
	buffer_load_dword v16, off, s[0:3], 0 offset:216
	v_addc_co_u32_e32 v2, vcc, v2, v4, vcc
	s_waitcnt vmcnt(12)
	v_add_u32_e32 v3, 7, v18
	v_ashrrev_i32_e32 v4, 31, v3
	v_add_co_u32_e32 v1, vcc, v1, v3
	s_waitcnt vmcnt(11)
	v_add_u32_e32 v3, 7, v12
	buffer_load_dword v12, off, s[0:3], 0 offset:220
	v_addc_co_u32_e32 v2, vcc, v2, v4, vcc
	v_ashrrev_i32_e32 v4, 31, v3
	v_add_co_u32_e32 v1, vcc, v1, v3
	s_waitcnt vmcnt(9)
	v_add_u32_e32 v3, 7, v13
	buffer_load_dword v13, off, s[0:3], 0 offset:224
	v_addc_co_u32_e32 v2, vcc, v2, v4, vcc
	v_ashrrev_i32_e32 v4, 31, v3
	v_add_co_u32_e32 v1, vcc, v1, v3
	v_addc_co_u32_e32 v2, vcc, v2, v4, vcc
	s_waitcnt vmcnt(9)
	v_add_u32_e32 v3, 7, v10
	buffer_load_dword v10, off, s[0:3], 0 offset:228
	v_ashrrev_i32_e32 v4, 31, v3
	v_add_co_u32_e32 v1, vcc, v1, v3
	s_waitcnt vmcnt(9)
	v_add_u32_e32 v3, 7, v9
	buffer_load_dword v9, off, s[0:3], 0 offset:232
	v_addc_co_u32_e32 v2, vcc, v2, v4, vcc
	v_ashrrev_i32_e32 v4, 31, v3
	v_add_co_u32_e32 v1, vcc, v1, v3
	s_waitcnt vmcnt(9)
	v_add_u32_e32 v3, 7, v6
	buffer_load_dword v6, off, s[0:3], 0 offset:236
	v_addc_co_u32_e32 v2, vcc, v2, v4, vcc
	v_ashrrev_i32_e32 v4, 31, v3
	v_add_co_u32_e32 v1, vcc, v1, v3
	v_addc_co_u32_e32 v2, vcc, v2, v4, vcc
	s_waitcnt vmcnt(9)
	v_add_u32_e32 v3, 7, v8
	buffer_load_dword v8, off, s[0:3], 0 offset:240
	v_ashrrev_i32_e32 v4, 31, v3
	v_add_co_u32_e32 v1, vcc, v1, v3
	v_add_u32_e32 v3, 7, v14
	buffer_load_dword v14, off, s[0:3], 0 offset:244
	v_addc_co_u32_e32 v2, vcc, v2, v4, vcc
	v_ashrrev_i32_e32 v4, 31, v3
	v_add_co_u32_e32 v1, vcc, v1, v3
	s_waitcnt vmcnt(10)
	v_add_u32_e32 v3, 7, v11
	buffer_load_dword v11, off, s[0:3], 0 offset:248
	v_addc_co_u32_e32 v2, vcc, v2, v4, vcc
	v_ashrrev_i32_e32 v4, 31, v3
	v_add_co_u32_e32 v1, vcc, v1, v3
	s_waitcnt vmcnt(10)
	;; [unrolled: 6-line block ×3, first 2 shown]
	v_add_u32_e32 v3, 7, v7
	buffer_load_dword v7, off, s[0:3], 0 offset:256
	v_addc_co_u32_e32 v2, vcc, v2, v4, vcc
	v_ashrrev_i32_e32 v4, 31, v3
	v_add_co_u32_e32 v1, vcc, v1, v3
	v_add_u32_e32 v3, 7, v15
	buffer_load_dword v15, off, s[0:3], 0 offset:260
	v_addc_co_u32_e32 v2, vcc, v2, v4, vcc
	v_ashrrev_i32_e32 v4, 31, v3
	v_add_co_u32_e32 v1, vcc, v1, v3
	s_waitcnt vmcnt(11)
	v_add_u32_e32 v3, 7, v16
	buffer_load_dword v16, off, s[0:3], 0 offset:264
	v_addc_co_u32_e32 v2, vcc, v2, v4, vcc
	v_ashrrev_i32_e32 v4, 31, v3
	v_add_co_u32_e32 v1, vcc, v1, v3
	s_waitcnt vmcnt(11)
	;; [unrolled: 6-line block ×3, first 2 shown]
	v_add_u32_e32 v3, 7, v13
	buffer_load_dword v13, off, s[0:3], 0 offset:272
	v_addc_co_u32_e32 v2, vcc, v2, v4, vcc
	v_ashrrev_i32_e32 v4, 31, v3
	v_add_co_u32_e32 v1, vcc, v1, v3
	v_addc_co_u32_e32 v2, vcc, v2, v4, vcc
	s_waitcnt vmcnt(11)
	v_add_u32_e32 v3, 7, v10
	buffer_load_dword v10, off, s[0:3], 0 offset:276
	v_ashrrev_i32_e32 v4, 31, v3
	v_add_co_u32_e32 v1, vcc, v1, v3
	s_waitcnt vmcnt(11)
	v_add_u32_e32 v3, 7, v9
	buffer_load_dword v9, off, s[0:3], 0 offset:280
	v_addc_co_u32_e32 v2, vcc, v2, v4, vcc
	v_ashrrev_i32_e32 v4, 31, v3
	v_add_co_u32_e32 v1, vcc, v1, v3
	s_waitcnt vmcnt(11)
	v_add_u32_e32 v3, 7, v6
	buffer_load_dword v6, off, s[0:3], 0 offset:284
	v_addc_co_u32_e32 v2, vcc, v2, v4, vcc
	v_ashrrev_i32_e32 v4, 31, v3
	v_add_co_u32_e32 v1, vcc, v1, v3
	v_addc_co_u32_e32 v2, vcc, v2, v4, vcc
	s_waitcnt vmcnt(11)
	v_add_u32_e32 v3, 7, v8
	buffer_load_dword v8, off, s[0:3], 0 offset:288
	v_ashrrev_i32_e32 v4, 31, v3
	v_add_co_u32_e32 v1, vcc, v1, v3
	s_waitcnt vmcnt(11)
	v_add_u32_e32 v3, 7, v14
	buffer_load_dword v14, off, s[0:3], 0 offset:292
	v_addc_co_u32_e32 v2, vcc, v2, v4, vcc
	v_ashrrev_i32_e32 v4, 31, v3
	v_add_co_u32_e32 v1, vcc, v1, v3
	s_waitcnt vmcnt(11)
	v_add_u32_e32 v3, 7, v11
	buffer_load_dword v11, off, s[0:3], 0 offset:296
	v_addc_co_u32_e32 v2, vcc, v2, v4, vcc
	;; [unrolled: 6-line block ×8, first 2 shown]
	v_ashrrev_i32_e32 v4, 31, v3
	v_add_co_u32_e32 v1, vcc, v1, v3
	v_addc_co_u32_e32 v2, vcc, v2, v4, vcc
	s_waitcnt vmcnt(11)
	v_add_u32_e32 v3, 7, v10
	buffer_load_dword v10, off, s[0:3], 0 offset:324
	v_ashrrev_i32_e32 v4, 31, v3
	v_add_co_u32_e32 v1, vcc, v1, v3
	s_waitcnt vmcnt(11)
	v_add_u32_e32 v3, 7, v9
	buffer_load_dword v9, off, s[0:3], 0 offset:328
	v_addc_co_u32_e32 v2, vcc, v2, v4, vcc
	v_ashrrev_i32_e32 v4, 31, v3
	v_add_co_u32_e32 v1, vcc, v1, v3
	s_waitcnt vmcnt(11)
	v_add_u32_e32 v3, 7, v6
	buffer_load_dword v6, off, s[0:3], 0 offset:332
	v_addc_co_u32_e32 v2, vcc, v2, v4, vcc
	v_ashrrev_i32_e32 v4, 31, v3
	v_add_co_u32_e32 v1, vcc, v1, v3
	v_addc_co_u32_e32 v2, vcc, v2, v4, vcc
	s_waitcnt vmcnt(11)
	v_add_u32_e32 v3, 7, v8
	buffer_load_dword v8, off, s[0:3], 0 offset:336
	v_ashrrev_i32_e32 v4, 31, v3
	v_add_co_u32_e32 v1, vcc, v1, v3
	s_waitcnt vmcnt(11)
	v_add_u32_e32 v3, 7, v14
	buffer_load_dword v14, off, s[0:3], 0 offset:340
	v_addc_co_u32_e32 v2, vcc, v2, v4, vcc
	v_ashrrev_i32_e32 v4, 31, v3
	v_add_co_u32_e32 v1, vcc, v1, v3
	s_waitcnt vmcnt(11)
	v_add_u32_e32 v3, 7, v11
	buffer_load_dword v11, off, s[0:3], 0 offset:344
	v_addc_co_u32_e32 v2, vcc, v2, v4, vcc
	;; [unrolled: 6-line block ×8, first 2 shown]
	v_ashrrev_i32_e32 v4, 31, v3
	v_add_co_u32_e32 v1, vcc, v1, v3
	v_addc_co_u32_e32 v2, vcc, v2, v4, vcc
	s_waitcnt vmcnt(11)
	v_add_u32_e32 v3, 7, v10
	buffer_load_dword v10, off, s[0:3], 0 offset:372
	v_ashrrev_i32_e32 v4, 31, v3
	v_add_co_u32_e32 v1, vcc, v1, v3
	s_waitcnt vmcnt(11)
	v_add_u32_e32 v3, 7, v9
	buffer_load_dword v9, off, s[0:3], 0 offset:376
	v_addc_co_u32_e32 v2, vcc, v2, v4, vcc
	v_ashrrev_i32_e32 v4, 31, v3
	v_add_co_u32_e32 v1, vcc, v1, v3
	s_waitcnt vmcnt(11)
	v_add_u32_e32 v3, 7, v6
	buffer_load_dword v6, off, s[0:3], 0 offset:380
	v_addc_co_u32_e32 v2, vcc, v2, v4, vcc
	v_ashrrev_i32_e32 v4, 31, v3
	v_add_co_u32_e32 v1, vcc, v1, v3
	v_addc_co_u32_e32 v2, vcc, v2, v4, vcc
	s_waitcnt vmcnt(11)
	v_add_u32_e32 v3, 7, v8
	buffer_load_dword v8, off, s[0:3], 0 offset:384
	v_ashrrev_i32_e32 v4, 31, v3
	v_add_co_u32_e32 v1, vcc, v1, v3
	s_waitcnt vmcnt(11)
	v_add_u32_e32 v3, 7, v14
	buffer_load_dword v14, off, s[0:3], 0 offset:388
	v_addc_co_u32_e32 v2, vcc, v2, v4, vcc
	v_ashrrev_i32_e32 v4, 31, v3
	v_add_co_u32_e32 v1, vcc, v1, v3
	s_waitcnt vmcnt(11)
	v_add_u32_e32 v3, 7, v11
	buffer_load_dword v11, off, s[0:3], 0 offset:392
	v_addc_co_u32_e32 v2, vcc, v2, v4, vcc
	;; [unrolled: 6-line block ×8, first 2 shown]
	v_ashrrev_i32_e32 v4, 31, v3
	v_add_co_u32_e32 v1, vcc, v1, v3
	v_addc_co_u32_e32 v2, vcc, v2, v4, vcc
	s_waitcnt vmcnt(11)
	v_add_u32_e32 v3, 7, v10
	buffer_load_dword v10, off, s[0:3], 0 offset:420
	v_ashrrev_i32_e32 v4, 31, v3
	v_add_co_u32_e32 v1, vcc, v1, v3
	s_waitcnt vmcnt(11)
	v_add_u32_e32 v3, 7, v9
	buffer_load_dword v9, off, s[0:3], 0 offset:424
	v_addc_co_u32_e32 v2, vcc, v2, v4, vcc
	v_ashrrev_i32_e32 v4, 31, v3
	v_add_co_u32_e32 v1, vcc, v1, v3
	s_waitcnt vmcnt(11)
	v_add_u32_e32 v3, 7, v6
	buffer_load_dword v6, off, s[0:3], 0 offset:428
	v_addc_co_u32_e32 v2, vcc, v2, v4, vcc
	v_ashrrev_i32_e32 v4, 31, v3
	v_add_co_u32_e32 v1, vcc, v1, v3
	v_addc_co_u32_e32 v2, vcc, v2, v4, vcc
	s_waitcnt vmcnt(11)
	v_add_u32_e32 v3, 7, v8
	buffer_load_dword v8, off, s[0:3], 0 offset:432
	v_ashrrev_i32_e32 v4, 31, v3
	v_add_co_u32_e32 v1, vcc, v1, v3
	s_waitcnt vmcnt(11)
	v_add_u32_e32 v3, 7, v14
	buffer_load_dword v14, off, s[0:3], 0 offset:436
	v_addc_co_u32_e32 v2, vcc, v2, v4, vcc
	v_ashrrev_i32_e32 v4, 31, v3
	v_add_co_u32_e32 v1, vcc, v1, v3
	s_waitcnt vmcnt(11)
	v_add_u32_e32 v3, 7, v11
	buffer_load_dword v11, off, s[0:3], 0 offset:440
	v_addc_co_u32_e32 v2, vcc, v2, v4, vcc
	;; [unrolled: 6-line block ×8, first 2 shown]
	v_ashrrev_i32_e32 v4, 31, v3
	v_add_co_u32_e32 v1, vcc, v1, v3
	v_addc_co_u32_e32 v2, vcc, v2, v4, vcc
	s_waitcnt vmcnt(11)
	v_add_u32_e32 v3, 7, v10
	buffer_load_dword v10, off, s[0:3], 0 offset:468
	v_ashrrev_i32_e32 v4, 31, v3
	v_add_co_u32_e32 v1, vcc, v1, v3
	s_waitcnt vmcnt(11)
	v_add_u32_e32 v3, 7, v9
	buffer_load_dword v9, off, s[0:3], 0 offset:472
	v_addc_co_u32_e32 v2, vcc, v2, v4, vcc
	v_ashrrev_i32_e32 v4, 31, v3
	v_add_co_u32_e32 v1, vcc, v1, v3
	s_waitcnt vmcnt(11)
	v_add_u32_e32 v3, 7, v6
	buffer_load_dword v6, off, s[0:3], 0 offset:476
	v_addc_co_u32_e32 v2, vcc, v2, v4, vcc
	v_ashrrev_i32_e32 v4, 31, v3
	v_add_co_u32_e32 v1, vcc, v1, v3
	v_addc_co_u32_e32 v2, vcc, v2, v4, vcc
	s_waitcnt vmcnt(11)
	v_add_u32_e32 v3, 7, v8
	buffer_load_dword v8, off, s[0:3], 0 offset:480
	v_ashrrev_i32_e32 v4, 31, v3
	v_add_co_u32_e32 v1, vcc, v1, v3
	s_waitcnt vmcnt(11)
	v_add_u32_e32 v3, 7, v14
	buffer_load_dword v14, off, s[0:3], 0 offset:484
	v_addc_co_u32_e32 v2, vcc, v2, v4, vcc
	v_ashrrev_i32_e32 v4, 31, v3
	v_add_co_u32_e32 v1, vcc, v1, v3
	s_waitcnt vmcnt(11)
	v_add_u32_e32 v3, 7, v11
	buffer_load_dword v11, off, s[0:3], 0 offset:488
	v_addc_co_u32_e32 v2, vcc, v2, v4, vcc
	v_ashrrev_i32_e32 v4, 31, v3
	v_add_co_u32_e32 v1, vcc, v1, v3
	s_waitcnt vmcnt(11)
	v_add_u32_e32 v3, 7, v5
	buffer_load_dword v5, off, s[0:3], 0 offset:492
	v_addc_co_u32_e32 v2, vcc, v2, v4, vcc
	v_ashrrev_i32_e32 v4, 31, v3
	v_add_co_u32_e32 v1, vcc, v1, v3
	s_waitcnt vmcnt(11)
	v_add_u32_e32 v3, 7, v7
	buffer_load_dword v7, off, s[0:3], 0 offset:496
	v_addc_co_u32_e32 v2, vcc, v2, v4, vcc
	v_ashrrev_i32_e32 v4, 31, v3
	v_add_co_u32_e32 v1, vcc, v1, v3
	s_waitcnt vmcnt(11)
	v_add_u32_e32 v3, 7, v15
	buffer_load_dword v15, off, s[0:3], 0 offset:500
	v_addc_co_u32_e32 v2, vcc, v2, v4, vcc
	v_ashrrev_i32_e32 v4, 31, v3
	v_add_co_u32_e32 v1, vcc, v1, v3
	s_waitcnt vmcnt(11)
	v_add_u32_e32 v3, 7, v16
	buffer_load_dword v16, off, s[0:3], 0 offset:504
	v_addc_co_u32_e32 v2, vcc, v2, v4, vcc
	v_ashrrev_i32_e32 v4, 31, v3
	v_add_co_u32_e32 v1, vcc, v1, v3
	s_waitcnt vmcnt(11)
	v_add_u32_e32 v3, 7, v12
	buffer_load_dword v12, off, s[0:3], 0 offset:508
	v_addc_co_u32_e32 v2, vcc, v2, v4, vcc
	v_ashrrev_i32_e32 v4, 31, v3
	v_add_co_u32_e32 v1, vcc, v1, v3
	s_waitcnt vmcnt(11)
	v_add_u32_e32 v3, 7, v13
	buffer_load_dword v13, off, s[0:3], 0 offset:512
	v_addc_co_u32_e32 v2, vcc, v2, v4, vcc
	v_ashrrev_i32_e32 v4, 31, v3
	v_add_co_u32_e32 v1, vcc, v1, v3
	v_addc_co_u32_e32 v2, vcc, v2, v4, vcc
	s_waitcnt vmcnt(11)
	v_add_u32_e32 v3, 7, v10
	buffer_load_dword v10, off, s[0:3], 0 offset:516
	v_ashrrev_i32_e32 v4, 31, v3
	v_add_co_u32_e32 v1, vcc, v1, v3
	s_waitcnt vmcnt(11)
	v_add_u32_e32 v3, 7, v9
	buffer_load_dword v9, off, s[0:3], 0 offset:520
	v_addc_co_u32_e32 v2, vcc, v2, v4, vcc
	v_ashrrev_i32_e32 v4, 31, v3
	v_add_co_u32_e32 v1, vcc, v1, v3
	s_waitcnt vmcnt(11)
	v_add_u32_e32 v3, 7, v6
	buffer_load_dword v6, off, s[0:3], 0 offset:524
	v_addc_co_u32_e32 v2, vcc, v2, v4, vcc
	v_ashrrev_i32_e32 v4, 31, v3
	v_add_co_u32_e32 v1, vcc, v1, v3
	v_addc_co_u32_e32 v2, vcc, v2, v4, vcc
	s_waitcnt vmcnt(11)
	v_add_u32_e32 v3, 7, v8
	buffer_load_dword v8, off, s[0:3], 0 offset:528
	v_ashrrev_i32_e32 v4, 31, v3
	v_add_co_u32_e32 v1, vcc, v1, v3
	s_waitcnt vmcnt(11)
	v_add_u32_e32 v3, 7, v14
	buffer_load_dword v14, off, s[0:3], 0 offset:532
	v_addc_co_u32_e32 v2, vcc, v2, v4, vcc
	v_ashrrev_i32_e32 v4, 31, v3
	v_add_co_u32_e32 v1, vcc, v1, v3
	s_waitcnt vmcnt(11)
	v_add_u32_e32 v3, 7, v11
	buffer_load_dword v11, off, s[0:3], 0 offset:536
	v_addc_co_u32_e32 v2, vcc, v2, v4, vcc
	;; [unrolled: 6-line block ×8, first 2 shown]
	v_ashrrev_i32_e32 v4, 31, v3
	v_add_co_u32_e32 v1, vcc, v1, v3
	v_addc_co_u32_e32 v2, vcc, v2, v4, vcc
	s_waitcnt vmcnt(11)
	v_add_u32_e32 v3, 7, v10
	buffer_load_dword v10, off, s[0:3], 0 offset:564
	v_ashrrev_i32_e32 v4, 31, v3
	v_add_co_u32_e32 v1, vcc, v1, v3
	s_waitcnt vmcnt(11)
	v_add_u32_e32 v3, 7, v9
	buffer_load_dword v9, off, s[0:3], 0 offset:568
	v_addc_co_u32_e32 v2, vcc, v2, v4, vcc
	v_ashrrev_i32_e32 v4, 31, v3
	v_add_co_u32_e32 v1, vcc, v1, v3
	s_waitcnt vmcnt(11)
	v_add_u32_e32 v3, 7, v6
	buffer_load_dword v6, off, s[0:3], 0 offset:572
	v_addc_co_u32_e32 v2, vcc, v2, v4, vcc
	v_ashrrev_i32_e32 v4, 31, v3
	v_add_co_u32_e32 v1, vcc, v1, v3
	v_addc_co_u32_e32 v2, vcc, v2, v4, vcc
	s_waitcnt vmcnt(11)
	v_add_u32_e32 v3, 7, v8
	buffer_load_dword v8, off, s[0:3], 0 offset:576
	v_ashrrev_i32_e32 v4, 31, v3
	v_add_co_u32_e32 v1, vcc, v1, v3
	s_waitcnt vmcnt(11)
	v_add_u32_e32 v3, 7, v14
	buffer_load_dword v14, off, s[0:3], 0 offset:580
	v_addc_co_u32_e32 v2, vcc, v2, v4, vcc
	v_ashrrev_i32_e32 v4, 31, v3
	v_add_co_u32_e32 v1, vcc, v1, v3
	s_waitcnt vmcnt(11)
	v_add_u32_e32 v3, 7, v11
	buffer_load_dword v11, off, s[0:3], 0 offset:584
	v_addc_co_u32_e32 v2, vcc, v2, v4, vcc
	;; [unrolled: 6-line block ×8, first 2 shown]
	v_ashrrev_i32_e32 v4, 31, v3
	v_add_co_u32_e32 v1, vcc, v1, v3
	v_addc_co_u32_e32 v2, vcc, v2, v4, vcc
	s_waitcnt vmcnt(11)
	v_add_u32_e32 v3, 7, v10
	buffer_load_dword v10, off, s[0:3], 0 offset:612
	v_ashrrev_i32_e32 v4, 31, v3
	v_add_co_u32_e32 v1, vcc, v1, v3
	s_waitcnt vmcnt(11)
	v_add_u32_e32 v3, 7, v9
	buffer_load_dword v9, off, s[0:3], 0 offset:616
	v_addc_co_u32_e32 v2, vcc, v2, v4, vcc
	v_ashrrev_i32_e32 v4, 31, v3
	v_add_co_u32_e32 v1, vcc, v1, v3
	s_waitcnt vmcnt(11)
	v_add_u32_e32 v3, 7, v6
	buffer_load_dword v6, off, s[0:3], 0 offset:620
	v_addc_co_u32_e32 v2, vcc, v2, v4, vcc
	v_ashrrev_i32_e32 v4, 31, v3
	v_add_co_u32_e32 v1, vcc, v1, v3
	v_addc_co_u32_e32 v2, vcc, v2, v4, vcc
	s_waitcnt vmcnt(11)
	v_add_u32_e32 v3, 7, v8
	buffer_load_dword v8, off, s[0:3], 0 offset:624
	v_ashrrev_i32_e32 v4, 31, v3
	v_add_co_u32_e32 v1, vcc, v1, v3
	s_waitcnt vmcnt(11)
	v_add_u32_e32 v3, 7, v14
	buffer_load_dword v14, off, s[0:3], 0 offset:628
	v_addc_co_u32_e32 v2, vcc, v2, v4, vcc
	v_ashrrev_i32_e32 v4, 31, v3
	v_add_co_u32_e32 v1, vcc, v1, v3
	s_waitcnt vmcnt(11)
	v_add_u32_e32 v3, 7, v11
	buffer_load_dword v11, off, s[0:3], 0 offset:632
	v_addc_co_u32_e32 v2, vcc, v2, v4, vcc
	;; [unrolled: 6-line block ×3, first 2 shown]
	v_ashrrev_i32_e32 v4, 31, v3
	v_add_co_u32_e32 v1, vcc, v1, v3
	v_addc_co_u32_e32 v2, vcc, v2, v4, vcc
	s_waitcnt vmcnt(11)
	v_add_u32_e32 v3, 7, v7
	v_ashrrev_i32_e32 v4, 31, v3
	v_add_co_u32_e32 v1, vcc, v1, v3
	buffer_load_dword v3, off, s[0:3], 0 offset:640
	v_addc_co_u32_e32 v2, vcc, v2, v4, vcc
	s_waitcnt vmcnt(11)
	v_add_u32_e32 v4, 7, v15
	v_ashrrev_i32_e32 v7, 31, v4
	v_add_co_u32_e32 v1, vcc, v1, v4
	buffer_load_dword v4, off, s[0:3], 0 offset:644
	v_addc_co_u32_e32 v2, vcc, v2, v7, vcc
	s_waitcnt vmcnt(11)
	v_add_u32_e32 v7, 7, v16
	buffer_load_dword v16, off, s[0:3], 0 offset:648
	v_ashrrev_i32_e32 v15, 31, v7
	v_add_co_u32_e32 v1, vcc, v1, v7
	v_addc_co_u32_e32 v2, vcc, v2, v15, vcc
	s_waitcnt vmcnt(11)
	v_add_u32_e32 v7, 7, v12
	buffer_load_dword v15, off, s[0:3], 0 offset:652
	v_ashrrev_i32_e32 v12, 31, v7
	v_add_co_u32_e32 v1, vcc, v1, v7
	;; [unrolled: 6-line block ×3, first 2 shown]
	v_addc_co_u32_e32 v2, vcc, v2, v12, vcc
	buffer_load_dword v12, off, s[0:3], 0 offset:660
	s_waitcnt vmcnt(12)
	v_add_u32_e32 v7, 7, v10
	v_ashrrev_i32_e32 v10, 31, v7
	v_add_co_u32_e32 v1, vcc, v1, v7
	s_waitcnt vmcnt(11)
	v_add_u32_e32 v7, 7, v9
	buffer_load_dword v9, off, s[0:3], 0 offset:664
	v_addc_co_u32_e32 v2, vcc, v2, v10, vcc
	v_ashrrev_i32_e32 v10, 31, v7
	v_add_co_u32_e32 v1, vcc, v1, v7
	buffer_load_dword v7, off, s[0:3], 0 offset:668
	buffer_load_dword v17, off, s[0:3], 0 offset:672
	v_addc_co_u32_e32 v2, vcc, v2, v10, vcc
	s_waitcnt vmcnt(13)
	v_add_u32_e32 v6, 7, v6
	v_ashrrev_i32_e32 v10, 31, v6
	v_add_co_u32_e32 v1, vcc, v1, v6
	v_addc_co_u32_e32 v2, vcc, v2, v10, vcc
	buffer_load_dword v10, off, s[0:3], 0 offset:676
	s_waitcnt vmcnt(13)
	v_add_u32_e32 v6, 7, v8
	v_ashrrev_i32_e32 v8, 31, v6
	v_add_co_u32_e32 v1, vcc, v1, v6
	s_waitcnt vmcnt(12)
	v_add_u32_e32 v6, 7, v14
	buffer_load_dword v14, off, s[0:3], 0 offset:680
	v_addc_co_u32_e32 v2, vcc, v2, v8, vcc
	v_ashrrev_i32_e32 v8, 31, v6
	v_add_co_u32_e32 v1, vcc, v1, v6
	s_waitcnt vmcnt(12)
	v_add_u32_e32 v6, 7, v11
	buffer_load_dword v11, off, s[0:3], 0 offset:684
	v_addc_co_u32_e32 v2, vcc, v2, v8, vcc
	v_ashrrev_i32_e32 v8, 31, v6
	v_add_co_u32_e32 v1, vcc, v1, v6
	buffer_load_dword v6, off, s[0:3], 0 offset:688
	v_addc_co_u32_e32 v2, vcc, v2, v8, vcc
	s_waitcnt vmcnt(13)
	v_add_u32_e32 v5, 7, v5
	v_ashrrev_i32_e32 v8, 31, v5
	v_add_co_u32_e32 v1, vcc, v1, v5
	buffer_load_dword v5, off, s[0:3], 0 offset:692
	buffer_load_dword v18, off, s[0:3], 0 offset:696
	v_addc_co_u32_e32 v2, vcc, v2, v8, vcc
	s_waitcnt vmcnt(14)
	v_add_u32_e32 v3, 7, v3
	v_ashrrev_i32_e32 v8, 31, v3
	v_add_co_u32_e32 v1, vcc, v1, v3
	v_addc_co_u32_e32 v2, vcc, v2, v8, vcc
	s_waitcnt vmcnt(13)
	v_add_u32_e32 v3, 7, v4
	v_ashrrev_i32_e32 v4, 31, v3
	v_add_co_u32_e32 v1, vcc, v1, v3
	;; [unrolled: 5-line block ×15, first 2 shown]
	v_addc_co_u32_e32 v3, vcc, v3, v4, vcc
	global_store_dwordx2 v0, v[2:3], s[4:5]
	s_endpgm
	.section	.rodata,"a",@progbits
	.p2align	6, 0x0
	.amdhsa_kernel _Z16test_kern_mediumPm
		.amdhsa_group_segment_fixed_size 0
		.amdhsa_private_segment_fixed_size 704
		.amdhsa_kernarg_size 8
		.amdhsa_user_sgpr_count 8
		.amdhsa_user_sgpr_private_segment_buffer 1
		.amdhsa_user_sgpr_dispatch_ptr 0
		.amdhsa_user_sgpr_queue_ptr 0
		.amdhsa_user_sgpr_kernarg_segment_ptr 1
		.amdhsa_user_sgpr_dispatch_id 0
		.amdhsa_user_sgpr_flat_scratch_init 1
		.amdhsa_user_sgpr_kernarg_preload_length 0
		.amdhsa_user_sgpr_kernarg_preload_offset 0
		.amdhsa_user_sgpr_private_segment_size 0
		.amdhsa_uses_dynamic_stack 0
		.amdhsa_system_sgpr_private_segment_wavefront_offset 1
		.amdhsa_system_sgpr_workgroup_id_x 1
		.amdhsa_system_sgpr_workgroup_id_y 0
		.amdhsa_system_sgpr_workgroup_id_z 0
		.amdhsa_system_sgpr_workgroup_info 0
		.amdhsa_system_vgpr_workitem_id 0
		.amdhsa_next_free_vgpr 28
		.amdhsa_next_free_sgpr 10
		.amdhsa_accum_offset 28
		.amdhsa_reserve_vcc 1
		.amdhsa_reserve_flat_scratch 0
		.amdhsa_float_round_mode_32 0
		.amdhsa_float_round_mode_16_64 0
		.amdhsa_float_denorm_mode_32 3
		.amdhsa_float_denorm_mode_16_64 3
		.amdhsa_dx10_clamp 1
		.amdhsa_ieee_mode 1
		.amdhsa_fp16_overflow 0
		.amdhsa_tg_split 0
		.amdhsa_exception_fp_ieee_invalid_op 0
		.amdhsa_exception_fp_denorm_src 0
		.amdhsa_exception_fp_ieee_div_zero 0
		.amdhsa_exception_fp_ieee_overflow 0
		.amdhsa_exception_fp_ieee_underflow 0
		.amdhsa_exception_fp_ieee_inexact 0
		.amdhsa_exception_int_div_zero 0
	.end_amdhsa_kernel
	.text
.Lfunc_end2:
	.size	_Z16test_kern_mediumPm, .Lfunc_end2-_Z16test_kern_mediumPm
                                        ; -- End function
	.section	.AMDGPU.csdata,"",@progbits
; Kernel info:
; codeLenInByte = 5296
; NumSgprs: 14
; NumVgprs: 28
; NumAgprs: 0
; TotalNumVgprs: 28
; ScratchSize: 704
; MemoryBound: 0
; FloatMode: 240
; IeeeMode: 1
; LDSByteSize: 0 bytes/workgroup (compile time only)
; SGPRBlocks: 1
; VGPRBlocks: 3
; NumSGPRsForWavesPerEU: 14
; NumVGPRsForWavesPerEU: 28
; AccumOffset: 28
; Occupancy: 8
; WaveLimiterHint : 0
; COMPUTE_PGM_RSRC2:SCRATCH_EN: 1
; COMPUTE_PGM_RSRC2:USER_SGPR: 8
; COMPUTE_PGM_RSRC2:TRAP_HANDLER: 0
; COMPUTE_PGM_RSRC2:TGID_X_EN: 1
; COMPUTE_PGM_RSRC2:TGID_Y_EN: 0
; COMPUTE_PGM_RSRC2:TGID_Z_EN: 0
; COMPUTE_PGM_RSRC2:TIDIG_COMP_CNT: 0
; COMPUTE_PGM_RSRC3_GFX90A:ACCUM_OFFSET: 6
; COMPUTE_PGM_RSRC3_GFX90A:TG_SPLIT: 0
	.text
	.protected	_Z15test_kern_smallPm   ; -- Begin function _Z15test_kern_smallPm
	.globl	_Z15test_kern_smallPm
	.p2align	8
	.type	_Z15test_kern_smallPm,@function
_Z15test_kern_smallPm:                  ; @_Z15test_kern_smallPm
; %bb.0:
	s_endpgm
	.section	.rodata,"a",@progbits
	.p2align	6, 0x0
	.amdhsa_kernel _Z15test_kern_smallPm
		.amdhsa_group_segment_fixed_size 0
		.amdhsa_private_segment_fixed_size 0
		.amdhsa_kernarg_size 8
		.amdhsa_user_sgpr_count 6
		.amdhsa_user_sgpr_private_segment_buffer 1
		.amdhsa_user_sgpr_dispatch_ptr 0
		.amdhsa_user_sgpr_queue_ptr 0
		.amdhsa_user_sgpr_kernarg_segment_ptr 1
		.amdhsa_user_sgpr_dispatch_id 0
		.amdhsa_user_sgpr_flat_scratch_init 0
		.amdhsa_user_sgpr_kernarg_preload_length 0
		.amdhsa_user_sgpr_kernarg_preload_offset 0
		.amdhsa_user_sgpr_private_segment_size 0
		.amdhsa_uses_dynamic_stack 0
		.amdhsa_system_sgpr_private_segment_wavefront_offset 0
		.amdhsa_system_sgpr_workgroup_id_x 1
		.amdhsa_system_sgpr_workgroup_id_y 0
		.amdhsa_system_sgpr_workgroup_id_z 0
		.amdhsa_system_sgpr_workgroup_info 0
		.amdhsa_system_vgpr_workitem_id 0
		.amdhsa_next_free_vgpr 1
		.amdhsa_next_free_sgpr 0
		.amdhsa_accum_offset 4
		.amdhsa_reserve_vcc 0
		.amdhsa_reserve_flat_scratch 0
		.amdhsa_float_round_mode_32 0
		.amdhsa_float_round_mode_16_64 0
		.amdhsa_float_denorm_mode_32 3
		.amdhsa_float_denorm_mode_16_64 3
		.amdhsa_dx10_clamp 1
		.amdhsa_ieee_mode 1
		.amdhsa_fp16_overflow 0
		.amdhsa_tg_split 0
		.amdhsa_exception_fp_ieee_invalid_op 0
		.amdhsa_exception_fp_denorm_src 0
		.amdhsa_exception_fp_ieee_div_zero 0
		.amdhsa_exception_fp_ieee_overflow 0
		.amdhsa_exception_fp_ieee_underflow 0
		.amdhsa_exception_fp_ieee_inexact 0
		.amdhsa_exception_int_div_zero 0
	.end_amdhsa_kernel
	.text
.Lfunc_end3:
	.size	_Z15test_kern_smallPm, .Lfunc_end3-_Z15test_kern_smallPm
                                        ; -- End function
	.section	.AMDGPU.csdata,"",@progbits
; Kernel info:
; codeLenInByte = 4
; NumSgprs: 4
; NumVgprs: 0
; NumAgprs: 0
; TotalNumVgprs: 0
; ScratchSize: 0
; MemoryBound: 0
; FloatMode: 240
; IeeeMode: 1
; LDSByteSize: 0 bytes/workgroup (compile time only)
; SGPRBlocks: 0
; VGPRBlocks: 0
; NumSGPRsForWavesPerEU: 4
; NumVGPRsForWavesPerEU: 1
; AccumOffset: 4
; Occupancy: 8
; WaveLimiterHint : 0
; COMPUTE_PGM_RSRC2:SCRATCH_EN: 0
; COMPUTE_PGM_RSRC2:USER_SGPR: 6
; COMPUTE_PGM_RSRC2:TRAP_HANDLER: 0
; COMPUTE_PGM_RSRC2:TGID_X_EN: 1
; COMPUTE_PGM_RSRC2:TGID_Y_EN: 0
; COMPUTE_PGM_RSRC2:TGID_Z_EN: 0
; COMPUTE_PGM_RSRC2:TIDIG_COMP_CNT: 0
; COMPUTE_PGM_RSRC3_GFX90A:ACCUM_OFFSET: 0
; COMPUTE_PGM_RSRC3_GFX90A:TG_SPLIT: 0
	.section	.text._Z17test_page_migrateImEvPT_S0_,"axG",@progbits,_Z17test_page_migrateImEvPT_S0_,comdat
	.protected	_Z17test_page_migrateImEvPT_S0_ ; -- Begin function _Z17test_page_migrateImEvPT_S0_
	.globl	_Z17test_page_migrateImEvPT_S0_
	.p2align	8
	.type	_Z17test_page_migrateImEvPT_S0_,@function
_Z17test_page_migrateImEvPT_S0_:        ; @_Z17test_page_migrateImEvPT_S0_
; %bb.0:
	s_load_dword s7, s[4:5], 0x1c
	s_load_dwordx4 s[0:3], s[4:5], 0x0
	s_waitcnt lgkmcnt(0)
	s_and_b32 s4, s7, 0xffff
	s_mul_i32 s6, s6, s4
	v_add_u32_e32 v0, s6, v0
	v_ashrrev_i32_e32 v1, 31, v0
	v_lshlrev_b64 v[0:1], 3, v[0:1]
	v_mov_b32_e32 v2, s1
	v_add_co_u32_e32 v0, vcc, s0, v0
	v_addc_co_u32_e32 v1, vcc, v2, v1, vcc
	global_load_dwordx2 v[2:3], v[0:1], off
	v_mov_b32_e32 v4, s3
	s_waitcnt vmcnt(0)
	v_add_co_u32_e32 v2, vcc, s2, v2
	v_addc_co_u32_e32 v3, vcc, v3, v4, vcc
	global_store_dwordx2 v[0:1], v[2:3], off
	s_endpgm
	.section	.rodata,"a",@progbits
	.p2align	6, 0x0
	.amdhsa_kernel _Z17test_page_migrateImEvPT_S0_
		.amdhsa_group_segment_fixed_size 0
		.amdhsa_private_segment_fixed_size 0
		.amdhsa_kernarg_size 272
		.amdhsa_user_sgpr_count 6
		.amdhsa_user_sgpr_private_segment_buffer 1
		.amdhsa_user_sgpr_dispatch_ptr 0
		.amdhsa_user_sgpr_queue_ptr 0
		.amdhsa_user_sgpr_kernarg_segment_ptr 1
		.amdhsa_user_sgpr_dispatch_id 0
		.amdhsa_user_sgpr_flat_scratch_init 0
		.amdhsa_user_sgpr_kernarg_preload_length 0
		.amdhsa_user_sgpr_kernarg_preload_offset 0
		.amdhsa_user_sgpr_private_segment_size 0
		.amdhsa_uses_dynamic_stack 0
		.amdhsa_system_sgpr_private_segment_wavefront_offset 0
		.amdhsa_system_sgpr_workgroup_id_x 1
		.amdhsa_system_sgpr_workgroup_id_y 0
		.amdhsa_system_sgpr_workgroup_id_z 0
		.amdhsa_system_sgpr_workgroup_info 0
		.amdhsa_system_vgpr_workitem_id 0
		.amdhsa_next_free_vgpr 5
		.amdhsa_next_free_sgpr 8
		.amdhsa_accum_offset 8
		.amdhsa_reserve_vcc 1
		.amdhsa_reserve_flat_scratch 0
		.amdhsa_float_round_mode_32 0
		.amdhsa_float_round_mode_16_64 0
		.amdhsa_float_denorm_mode_32 3
		.amdhsa_float_denorm_mode_16_64 3
		.amdhsa_dx10_clamp 1
		.amdhsa_ieee_mode 1
		.amdhsa_fp16_overflow 0
		.amdhsa_tg_split 0
		.amdhsa_exception_fp_ieee_invalid_op 0
		.amdhsa_exception_fp_denorm_src 0
		.amdhsa_exception_fp_ieee_div_zero 0
		.amdhsa_exception_fp_ieee_overflow 0
		.amdhsa_exception_fp_ieee_underflow 0
		.amdhsa_exception_fp_ieee_inexact 0
		.amdhsa_exception_int_div_zero 0
	.end_amdhsa_kernel
	.section	.text._Z17test_page_migrateImEvPT_S0_,"axG",@progbits,_Z17test_page_migrateImEvPT_S0_,comdat
.Lfunc_end4:
	.size	_Z17test_page_migrateImEvPT_S0_, .Lfunc_end4-_Z17test_page_migrateImEvPT_S0_
                                        ; -- End function
	.section	.AMDGPU.csdata,"",@progbits
; Kernel info:
; codeLenInByte = 96
; NumSgprs: 12
; NumVgprs: 5
; NumAgprs: 0
; TotalNumVgprs: 5
; ScratchSize: 0
; MemoryBound: 0
; FloatMode: 240
; IeeeMode: 1
; LDSByteSize: 0 bytes/workgroup (compile time only)
; SGPRBlocks: 1
; VGPRBlocks: 0
; NumSGPRsForWavesPerEU: 12
; NumVGPRsForWavesPerEU: 5
; AccumOffset: 8
; Occupancy: 8
; WaveLimiterHint : 0
; COMPUTE_PGM_RSRC2:SCRATCH_EN: 0
; COMPUTE_PGM_RSRC2:USER_SGPR: 6
; COMPUTE_PGM_RSRC2:TRAP_HANDLER: 0
; COMPUTE_PGM_RSRC2:TGID_X_EN: 1
; COMPUTE_PGM_RSRC2:TGID_Y_EN: 0
; COMPUTE_PGM_RSRC2:TGID_Z_EN: 0
; COMPUTE_PGM_RSRC2:TIDIG_COMP_CNT: 0
; COMPUTE_PGM_RSRC3_GFX90A:ACCUM_OFFSET: 1
; COMPUTE_PGM_RSRC3_GFX90A:TG_SPLIT: 0
	.text
	.p2alignl 6, 3212836864
	.fill 256, 4, 3212836864
	.type	__hip_cuid_c0820244c4b6e248,@object ; @__hip_cuid_c0820244c4b6e248
	.section	.bss,"aw",@nobits
	.globl	__hip_cuid_c0820244c4b6e248
__hip_cuid_c0820244c4b6e248:
	.byte	0                               ; 0x0
	.size	__hip_cuid_c0820244c4b6e248, 1

	.ident	"AMD clang version 19.0.0git (https://github.com/RadeonOpenCompute/llvm-project roc-6.4.0 25133 c7fe45cf4b819c5991fe208aaa96edf142730f1d)"
	.section	".note.GNU-stack","",@progbits
	.addrsig
	.addrsig_sym __hip_cuid_c0820244c4b6e248
	.amdgpu_metadata
---
amdhsa.kernels:
  - .agpr_count:     0
    .args:
      - .address_space:  global
        .offset:         0
        .size:           8
        .value_kind:     global_buffer
      - .address_space:  global
        .offset:         8
        .size:           8
        .value_kind:     global_buffer
      - .offset:         16
        .size:           4
        .value_kind:     by_value
      - .offset:         20
        .size:           4
        .value_kind:     by_value
      - .offset:         24
        .size:           4
        .value_kind:     hidden_block_count_x
      - .offset:         28
        .size:           4
        .value_kind:     hidden_block_count_y
      - .offset:         32
        .size:           4
        .value_kind:     hidden_block_count_z
      - .offset:         36
        .size:           2
        .value_kind:     hidden_group_size_x
      - .offset:         38
        .size:           2
        .value_kind:     hidden_group_size_y
      - .offset:         40
        .size:           2
        .value_kind:     hidden_group_size_z
      - .offset:         42
        .size:           2
        .value_kind:     hidden_remainder_x
      - .offset:         44
        .size:           2
        .value_kind:     hidden_remainder_y
      - .offset:         46
        .size:           2
        .value_kind:     hidden_remainder_z
      - .offset:         64
        .size:           8
        .value_kind:     hidden_global_offset_x
      - .offset:         72
        .size:           8
        .value_kind:     hidden_global_offset_y
      - .offset:         80
        .size:           8
        .value_kind:     hidden_global_offset_z
      - .offset:         88
        .size:           2
        .value_kind:     hidden_grid_dims
    .group_segment_fixed_size: 4096
    .kernarg_segment_align: 8
    .kernarg_segment_size: 280
    .language:       OpenCL C
    .language_version:
      - 2
      - 0
    .max_flat_workgroup_size: 1024
    .name:           _Z9transposePKiPiii
    .private_segment_fixed_size: 0
    .sgpr_count:     15
    .sgpr_spill_count: 0
    .symbol:         _Z9transposePKiPiii.kd
    .uniform_work_group_size: 1
    .uses_dynamic_stack: false
    .vgpr_count:     7
    .vgpr_spill_count: 0
    .wavefront_size: 64
  - .agpr_count:     0
    .args:
      - .address_space:  global
        .offset:         0
        .size:           8
        .value_kind:     global_buffer
    .group_segment_fixed_size: 0
    .kernarg_segment_align: 8
    .kernarg_segment_size: 8
    .language:       OpenCL C
    .language_version:
      - 2
      - 0
    .max_flat_workgroup_size: 1024
    .name:           _Z15test_kern_largePm
    .private_segment_fixed_size: 16016
    .sgpr_count:     14
    .sgpr_spill_count: 0
    .symbol:         _Z15test_kern_largePm.kd
    .uniform_work_group_size: 1
    .uses_dynamic_stack: false
    .vgpr_count:     35
    .vgpr_spill_count: 0
    .wavefront_size: 64
  - .agpr_count:     0
    .args:
      - .address_space:  global
        .offset:         0
        .size:           8
        .value_kind:     global_buffer
    .group_segment_fixed_size: 0
    .kernarg_segment_align: 8
    .kernarg_segment_size: 8
    .language:       OpenCL C
    .language_version:
      - 2
      - 0
    .max_flat_workgroup_size: 1024
    .name:           _Z16test_kern_mediumPm
    .private_segment_fixed_size: 704
    .sgpr_count:     14
    .sgpr_spill_count: 0
    .symbol:         _Z16test_kern_mediumPm.kd
    .uniform_work_group_size: 1
    .uses_dynamic_stack: false
    .vgpr_count:     28
    .vgpr_spill_count: 0
    .wavefront_size: 64
  - .agpr_count:     0
    .args:
      - .address_space:  global
        .offset:         0
        .size:           8
        .value_kind:     global_buffer
    .group_segment_fixed_size: 0
    .kernarg_segment_align: 8
    .kernarg_segment_size: 8
    .language:       OpenCL C
    .language_version:
      - 2
      - 0
    .max_flat_workgroup_size: 1024
    .name:           _Z15test_kern_smallPm
    .private_segment_fixed_size: 0
    .sgpr_count:     4
    .sgpr_spill_count: 0
    .symbol:         _Z15test_kern_smallPm.kd
    .uniform_work_group_size: 1
    .uses_dynamic_stack: false
    .vgpr_count:     0
    .vgpr_spill_count: 0
    .wavefront_size: 64
  - .agpr_count:     0
    .args:
      - .address_space:  global
        .offset:         0
        .size:           8
        .value_kind:     global_buffer
      - .offset:         8
        .size:           8
        .value_kind:     by_value
      - .offset:         16
        .size:           4
        .value_kind:     hidden_block_count_x
      - .offset:         20
        .size:           4
        .value_kind:     hidden_block_count_y
      - .offset:         24
        .size:           4
        .value_kind:     hidden_block_count_z
      - .offset:         28
        .size:           2
        .value_kind:     hidden_group_size_x
      - .offset:         30
        .size:           2
        .value_kind:     hidden_group_size_y
      - .offset:         32
        .size:           2
        .value_kind:     hidden_group_size_z
      - .offset:         34
        .size:           2
        .value_kind:     hidden_remainder_x
      - .offset:         36
        .size:           2
        .value_kind:     hidden_remainder_y
      - .offset:         38
        .size:           2
        .value_kind:     hidden_remainder_z
      - .offset:         56
        .size:           8
        .value_kind:     hidden_global_offset_x
      - .offset:         64
        .size:           8
        .value_kind:     hidden_global_offset_y
      - .offset:         72
        .size:           8
        .value_kind:     hidden_global_offset_z
      - .offset:         80
        .size:           2
        .value_kind:     hidden_grid_dims
    .group_segment_fixed_size: 0
    .kernarg_segment_align: 8
    .kernarg_segment_size: 272
    .language:       OpenCL C
    .language_version:
      - 2
      - 0
    .max_flat_workgroup_size: 1024
    .name:           _Z17test_page_migrateImEvPT_S0_
    .private_segment_fixed_size: 0
    .sgpr_count:     12
    .sgpr_spill_count: 0
    .symbol:         _Z17test_page_migrateImEvPT_S0_.kd
    .uniform_work_group_size: 1
    .uses_dynamic_stack: false
    .vgpr_count:     5
    .vgpr_spill_count: 0
    .wavefront_size: 64
amdhsa.target:   amdgcn-amd-amdhsa--gfx90a
amdhsa.version:
  - 1
  - 2
...

	.end_amdgpu_metadata
